;; amdgpu-corpus repo=ROCm/rocFFT kind=compiled arch=gfx906 opt=O3
	.text
	.amdgcn_target "amdgcn-amd-amdhsa--gfx906"
	.amdhsa_code_object_version 6
	.protected	fft_rtc_fwd_len1300_factors_10_10_13_wgs_130_tpt_130_sp_ip_CI_sbrr_dirReg ; -- Begin function fft_rtc_fwd_len1300_factors_10_10_13_wgs_130_tpt_130_sp_ip_CI_sbrr_dirReg
	.globl	fft_rtc_fwd_len1300_factors_10_10_13_wgs_130_tpt_130_sp_ip_CI_sbrr_dirReg
	.p2align	8
	.type	fft_rtc_fwd_len1300_factors_10_10_13_wgs_130_tpt_130_sp_ip_CI_sbrr_dirReg,@function
fft_rtc_fwd_len1300_factors_10_10_13_wgs_130_tpt_130_sp_ip_CI_sbrr_dirReg: ; @fft_rtc_fwd_len1300_factors_10_10_13_wgs_130_tpt_130_sp_ip_CI_sbrr_dirReg
; %bb.0:
	s_load_dwordx2 s[14:15], s[4:5], 0x18
	s_load_dwordx4 s[8:11], s[4:5], 0x0
	s_load_dwordx2 s[12:13], s[4:5], 0x50
	v_mul_u32_u24_e32 v1, 0x1f9, v0
	v_add_u32_sdwa v5, s6, v1 dst_sel:DWORD dst_unused:UNUSED_PAD src0_sel:DWORD src1_sel:WORD_1
	s_waitcnt lgkmcnt(0)
	s_load_dwordx2 s[2:3], s[14:15], 0x0
	v_cmp_lt_u64_e64 s[0:1], s[10:11], 2
	v_mov_b32_e32 v3, 0
	v_mov_b32_e32 v1, 0
	;; [unrolled: 1-line block ×3, first 2 shown]
	s_and_b64 vcc, exec, s[0:1]
	v_mov_b32_e32 v2, 0
	s_cbranch_vccnz .LBB0_8
; %bb.1:
	s_load_dwordx2 s[0:1], s[4:5], 0x10
	s_add_u32 s6, s14, 8
	s_addc_u32 s7, s15, 0
	v_mov_b32_e32 v1, 0
	v_mov_b32_e32 v2, 0
	s_waitcnt lgkmcnt(0)
	s_add_u32 s16, s0, 8
	s_addc_u32 s17, s1, 0
	s_mov_b64 s[18:19], 1
.LBB0_2:                                ; =>This Inner Loop Header: Depth=1
	s_load_dwordx2 s[20:21], s[16:17], 0x0
                                        ; implicit-def: $vgpr7_vgpr8
	s_waitcnt lgkmcnt(0)
	v_or_b32_e32 v4, s21, v6
	v_cmp_ne_u64_e32 vcc, 0, v[3:4]
	s_and_saveexec_b64 s[0:1], vcc
	s_xor_b64 s[22:23], exec, s[0:1]
	s_cbranch_execz .LBB0_4
; %bb.3:                                ;   in Loop: Header=BB0_2 Depth=1
	v_cvt_f32_u32_e32 v4, s20
	v_cvt_f32_u32_e32 v7, s21
	s_sub_u32 s0, 0, s20
	s_subb_u32 s1, 0, s21
	v_mac_f32_e32 v4, 0x4f800000, v7
	v_rcp_f32_e32 v4, v4
	v_mul_f32_e32 v4, 0x5f7ffffc, v4
	v_mul_f32_e32 v7, 0x2f800000, v4
	v_trunc_f32_e32 v7, v7
	v_mac_f32_e32 v4, 0xcf800000, v7
	v_cvt_u32_f32_e32 v7, v7
	v_cvt_u32_f32_e32 v4, v4
	v_mul_lo_u32 v8, s0, v7
	v_mul_hi_u32 v9, s0, v4
	v_mul_lo_u32 v11, s1, v4
	v_mul_lo_u32 v10, s0, v4
	v_add_u32_e32 v8, v9, v8
	v_add_u32_e32 v8, v8, v11
	v_mul_hi_u32 v9, v4, v10
	v_mul_lo_u32 v11, v4, v8
	v_mul_hi_u32 v13, v4, v8
	v_mul_hi_u32 v12, v7, v10
	v_mul_lo_u32 v10, v7, v10
	v_mul_hi_u32 v14, v7, v8
	v_add_co_u32_e32 v9, vcc, v9, v11
	v_addc_co_u32_e32 v11, vcc, 0, v13, vcc
	v_mul_lo_u32 v8, v7, v8
	v_add_co_u32_e32 v9, vcc, v9, v10
	v_addc_co_u32_e32 v9, vcc, v11, v12, vcc
	v_addc_co_u32_e32 v10, vcc, 0, v14, vcc
	v_add_co_u32_e32 v8, vcc, v9, v8
	v_addc_co_u32_e32 v9, vcc, 0, v10, vcc
	v_add_co_u32_e32 v4, vcc, v4, v8
	v_addc_co_u32_e32 v7, vcc, v7, v9, vcc
	v_mul_lo_u32 v8, s0, v7
	v_mul_hi_u32 v9, s0, v4
	v_mul_lo_u32 v10, s1, v4
	v_mul_lo_u32 v11, s0, v4
	v_add_u32_e32 v8, v9, v8
	v_add_u32_e32 v8, v8, v10
	v_mul_lo_u32 v12, v4, v8
	v_mul_hi_u32 v13, v4, v11
	v_mul_hi_u32 v14, v4, v8
	;; [unrolled: 1-line block ×3, first 2 shown]
	v_mul_lo_u32 v11, v7, v11
	v_mul_hi_u32 v9, v7, v8
	v_add_co_u32_e32 v12, vcc, v13, v12
	v_addc_co_u32_e32 v13, vcc, 0, v14, vcc
	v_mul_lo_u32 v8, v7, v8
	v_add_co_u32_e32 v11, vcc, v12, v11
	v_addc_co_u32_e32 v10, vcc, v13, v10, vcc
	v_addc_co_u32_e32 v9, vcc, 0, v9, vcc
	v_add_co_u32_e32 v8, vcc, v10, v8
	v_addc_co_u32_e32 v9, vcc, 0, v9, vcc
	v_add_co_u32_e32 v4, vcc, v4, v8
	v_addc_co_u32_e32 v9, vcc, v7, v9, vcc
	v_mad_u64_u32 v[7:8], s[0:1], v5, v9, 0
	v_mul_hi_u32 v10, v5, v4
	v_add_co_u32_e32 v11, vcc, v10, v7
	v_addc_co_u32_e32 v12, vcc, 0, v8, vcc
	v_mad_u64_u32 v[7:8], s[0:1], v6, v4, 0
	v_mad_u64_u32 v[9:10], s[0:1], v6, v9, 0
	v_add_co_u32_e32 v4, vcc, v11, v7
	v_addc_co_u32_e32 v4, vcc, v12, v8, vcc
	v_addc_co_u32_e32 v7, vcc, 0, v10, vcc
	v_add_co_u32_e32 v4, vcc, v4, v9
	v_addc_co_u32_e32 v9, vcc, 0, v7, vcc
	v_mul_lo_u32 v10, s21, v4
	v_mul_lo_u32 v11, s20, v9
	v_mad_u64_u32 v[7:8], s[0:1], s20, v4, 0
	v_add3_u32 v8, v8, v11, v10
	v_sub_u32_e32 v10, v6, v8
	v_mov_b32_e32 v11, s21
	v_sub_co_u32_e32 v7, vcc, v5, v7
	v_subb_co_u32_e64 v10, s[0:1], v10, v11, vcc
	v_subrev_co_u32_e64 v11, s[0:1], s20, v7
	v_subbrev_co_u32_e64 v10, s[0:1], 0, v10, s[0:1]
	v_cmp_le_u32_e64 s[0:1], s21, v10
	v_cndmask_b32_e64 v12, 0, -1, s[0:1]
	v_cmp_le_u32_e64 s[0:1], s20, v11
	v_cndmask_b32_e64 v11, 0, -1, s[0:1]
	v_cmp_eq_u32_e64 s[0:1], s21, v10
	v_cndmask_b32_e64 v10, v12, v11, s[0:1]
	v_add_co_u32_e64 v11, s[0:1], 2, v4
	v_addc_co_u32_e64 v12, s[0:1], 0, v9, s[0:1]
	v_add_co_u32_e64 v13, s[0:1], 1, v4
	v_addc_co_u32_e64 v14, s[0:1], 0, v9, s[0:1]
	v_subb_co_u32_e32 v8, vcc, v6, v8, vcc
	v_cmp_ne_u32_e64 s[0:1], 0, v10
	v_cmp_le_u32_e32 vcc, s21, v8
	v_cndmask_b32_e64 v10, v14, v12, s[0:1]
	v_cndmask_b32_e64 v12, 0, -1, vcc
	v_cmp_le_u32_e32 vcc, s20, v7
	v_cndmask_b32_e64 v7, 0, -1, vcc
	v_cmp_eq_u32_e32 vcc, s21, v8
	v_cndmask_b32_e32 v7, v12, v7, vcc
	v_cmp_ne_u32_e32 vcc, 0, v7
	v_cndmask_b32_e64 v7, v13, v11, s[0:1]
	v_cndmask_b32_e32 v8, v9, v10, vcc
	v_cndmask_b32_e32 v7, v4, v7, vcc
.LBB0_4:                                ;   in Loop: Header=BB0_2 Depth=1
	s_andn2_saveexec_b64 s[0:1], s[22:23]
	s_cbranch_execz .LBB0_6
; %bb.5:                                ;   in Loop: Header=BB0_2 Depth=1
	v_cvt_f32_u32_e32 v4, s20
	s_sub_i32 s22, 0, s20
	v_rcp_iflag_f32_e32 v4, v4
	v_mul_f32_e32 v4, 0x4f7ffffe, v4
	v_cvt_u32_f32_e32 v4, v4
	v_mul_lo_u32 v7, s22, v4
	v_mul_hi_u32 v7, v4, v7
	v_add_u32_e32 v4, v4, v7
	v_mul_hi_u32 v4, v5, v4
	v_mul_lo_u32 v7, v4, s20
	v_add_u32_e32 v8, 1, v4
	v_sub_u32_e32 v7, v5, v7
	v_subrev_u32_e32 v9, s20, v7
	v_cmp_le_u32_e32 vcc, s20, v7
	v_cndmask_b32_e32 v7, v7, v9, vcc
	v_cndmask_b32_e32 v4, v4, v8, vcc
	v_add_u32_e32 v8, 1, v4
	v_cmp_le_u32_e32 vcc, s20, v7
	v_cndmask_b32_e32 v7, v4, v8, vcc
	v_mov_b32_e32 v8, v3
.LBB0_6:                                ;   in Loop: Header=BB0_2 Depth=1
	s_or_b64 exec, exec, s[0:1]
	v_mul_lo_u32 v4, v8, s20
	v_mul_lo_u32 v11, v7, s21
	v_mad_u64_u32 v[9:10], s[0:1], v7, s20, 0
	s_load_dwordx2 s[0:1], s[6:7], 0x0
	s_add_u32 s18, s18, 1
	v_add3_u32 v4, v10, v11, v4
	v_sub_co_u32_e32 v5, vcc, v5, v9
	v_subb_co_u32_e32 v4, vcc, v6, v4, vcc
	s_waitcnt lgkmcnt(0)
	v_mul_lo_u32 v4, s0, v4
	v_mul_lo_u32 v6, s1, v5
	v_mad_u64_u32 v[1:2], s[0:1], s0, v5, v[1:2]
	s_addc_u32 s19, s19, 0
	s_add_u32 s6, s6, 8
	v_add3_u32 v2, v6, v2, v4
	v_mov_b32_e32 v4, s10
	v_mov_b32_e32 v5, s11
	s_addc_u32 s7, s7, 0
	v_cmp_ge_u64_e32 vcc, s[18:19], v[4:5]
	s_add_u32 s16, s16, 8
	s_addc_u32 s17, s17, 0
	s_cbranch_vccnz .LBB0_9
; %bb.7:                                ;   in Loop: Header=BB0_2 Depth=1
	v_mov_b32_e32 v5, v7
	v_mov_b32_e32 v6, v8
	s_branch .LBB0_2
.LBB0_8:
	v_mov_b32_e32 v8, v6
	v_mov_b32_e32 v7, v5
.LBB0_9:
	s_lshl_b64 s[0:1], s[10:11], 3
	s_add_u32 s0, s14, s0
	s_addc_u32 s1, s15, s1
	s_load_dwordx2 s[6:7], s[0:1], 0x0
	s_load_dwordx2 s[10:11], s[4:5], 0x20
                                        ; implicit-def: $vgpr13
                                        ; implicit-def: $vgpr17
                                        ; implicit-def: $vgpr9
                                        ; implicit-def: $vgpr15
                                        ; implicit-def: $vgpr19
                                        ; implicit-def: $vgpr11
	s_waitcnt lgkmcnt(0)
	v_mad_u64_u32 v[1:2], s[0:1], s6, v7, v[1:2]
	v_mul_lo_u32 v3, s6, v8
	v_mul_lo_u32 v4, s7, v7
	s_mov_b32 s0, 0x1f81f82
	v_mul_hi_u32 v5, v0, s0
	v_cmp_gt_u64_e32 vcc, s[10:11], v[7:8]
	v_add3_u32 v2, v4, v2, v3
	v_lshlrev_b64 v[24:25], 3, v[1:2]
	v_mul_u32_u24_e32 v3, 0x82, v5
	v_sub_u32_e32 v28, v0, v3
                                        ; implicit-def: $vgpr1
                                        ; implicit-def: $vgpr3
                                        ; implicit-def: $vgpr5
                                        ; implicit-def: $vgpr7
	s_and_saveexec_b64 s[4:5], vcc
	s_cbranch_execz .LBB0_11
; %bb.10:
	v_mad_u64_u32 v[0:1], s[0:1], s2, v28, 0
	v_add_u32_e32 v5, 0x82, v28
	v_mov_b32_e32 v4, s13
	v_mad_u64_u32 v[1:2], s[0:1], s3, v28, v[1:2]
	v_mad_u64_u32 v[2:3], s[0:1], s2, v5, 0
	v_add_co_u32_e64 v8, s[0:1], s12, v24
	v_addc_co_u32_e64 v9, s[0:1], v4, v25, s[0:1]
	v_mad_u64_u32 v[3:4], s[0:1], s3, v5, v[3:4]
	v_add_u32_e32 v6, 0x104, v28
	v_mad_u64_u32 v[4:5], s[0:1], s2, v6, 0
	v_lshlrev_b64 v[0:1], 3, v[0:1]
	v_add_co_u32_e64 v20, s[0:1], v8, v0
	v_addc_co_u32_e64 v21, s[0:1], v9, v1, s[0:1]
	v_lshlrev_b64 v[0:1], 3, v[2:3]
	v_mov_b32_e32 v2, v5
	v_mad_u64_u32 v[2:3], s[0:1], s3, v6, v[2:3]
	v_add_u32_e32 v3, 0x186, v28
	v_mad_u64_u32 v[6:7], s[0:1], s2, v3, 0
	v_add_co_u32_e64 v22, s[0:1], v8, v0
	v_mov_b32_e32 v5, v2
	v_mov_b32_e32 v2, v7
	v_addc_co_u32_e64 v23, s[0:1], v9, v1, s[0:1]
	v_lshlrev_b64 v[0:1], 3, v[4:5]
	v_mad_u64_u32 v[2:3], s[0:1], s3, v3, v[2:3]
	v_add_u32_e32 v5, 0x208, v28
	v_mad_u64_u32 v[3:4], s[0:1], s2, v5, 0
	v_add_co_u32_e64 v26, s[0:1], v8, v0
	v_mov_b32_e32 v7, v2
	v_mov_b32_e32 v2, v4
	v_addc_co_u32_e64 v27, s[0:1], v9, v1, s[0:1]
	v_lshlrev_b64 v[0:1], 3, v[6:7]
	v_mad_u64_u32 v[4:5], s[0:1], s3, v5, v[2:3]
	v_add_u32_e32 v7, 0x28a, v28
	v_mad_u64_u32 v[5:6], s[0:1], s2, v7, 0
	v_add_co_u32_e64 v29, s[0:1], v8, v0
	v_mov_b32_e32 v2, v6
	v_addc_co_u32_e64 v30, s[0:1], v9, v1, s[0:1]
	v_lshlrev_b64 v[0:1], 3, v[3:4]
	v_mad_u64_u32 v[2:3], s[0:1], s3, v7, v[2:3]
	v_add_u32_e32 v7, 0x30c, v28
	v_mad_u64_u32 v[3:4], s[0:1], s2, v7, 0
	v_add_co_u32_e64 v31, s[0:1], v8, v0
	v_mov_b32_e32 v6, v2
	v_mov_b32_e32 v2, v4
	v_addc_co_u32_e64 v32, s[0:1], v9, v1, s[0:1]
	v_lshlrev_b64 v[0:1], 3, v[5:6]
	v_mad_u64_u32 v[4:5], s[0:1], s3, v7, v[2:3]
	v_add_u32_e32 v7, 0x38e, v28
	v_mad_u64_u32 v[5:6], s[0:1], s2, v7, 0
	v_add_co_u32_e64 v33, s[0:1], v8, v0
	;; [unrolled: 15-line block ×3, first 2 shown]
	v_mov_b32_e32 v2, v6
	v_addc_co_u32_e64 v38, s[0:1], v9, v1, s[0:1]
	v_lshlrev_b64 v[0:1], 3, v[3:4]
	v_mad_u64_u32 v[2:3], s[0:1], s3, v7, v[2:3]
	v_add_co_u32_e64 v39, s[0:1], v8, v0
	v_mov_b32_e32 v6, v2
	v_addc_co_u32_e64 v40, s[0:1], v9, v1, s[0:1]
	v_lshlrev_b64 v[0:1], 3, v[5:6]
	v_add_co_u32_e64 v41, s[0:1], v8, v0
	v_addc_co_u32_e64 v42, s[0:1], v9, v1, s[0:1]
	global_load_dwordx2 v[0:1], v[20:21], off
	global_load_dwordx2 v[2:3], v[22:23], off
	;; [unrolled: 1-line block ×10, first 2 shown]
.LBB0_11:
	s_or_b64 exec, exec, s[4:5]
	s_waitcnt vmcnt(7)
	v_add_f32_e32 v22, v1, v13
	s_waitcnt vmcnt(5)
	v_add_f32_e32 v22, v22, v17
	v_add_f32_e32 v20, v0, v12
	s_waitcnt vmcnt(3)
	v_add_f32_e32 v22, v22, v15
	v_add_f32_e32 v20, v20, v16
	v_sub_f32_e32 v23, v17, v15
	v_add_f32_e32 v29, v17, v15
	v_sub_f32_e32 v30, v13, v17
	v_sub_f32_e32 v17, v17, v13
	s_waitcnt vmcnt(1)
	v_sub_f32_e32 v31, v13, v19
	v_add_f32_e32 v13, v13, v19
	v_sub_f32_e32 v34, v19, v15
	v_sub_f32_e32 v15, v15, v19
	v_add_f32_e32 v19, v22, v19
	v_add_f32_e32 v22, v3, v5
	;; [unrolled: 1-line block ×5, first 2 shown]
	v_sub_f32_e32 v26, v12, v16
	v_sub_f32_e32 v27, v16, v12
	;; [unrolled: 1-line block ×3, first 2 shown]
	v_add_f32_e32 v32, v12, v18
	v_sub_f32_e32 v12, v12, v18
	v_sub_f32_e32 v33, v18, v14
	;; [unrolled: 1-line block ×3, first 2 shown]
	v_add_f32_e32 v18, v20, v18
	v_add_f32_e32 v20, v2, v4
	v_add_f32_e32 v22, v22, v11
	v_fma_f32 v21, -0.5, v21, v0
	v_add_f32_e32 v20, v20, v8
	v_sub_f32_e32 v36, v9, v11
	v_add_f32_e32 v39, v9, v11
	v_sub_f32_e32 v40, v5, v9
	v_sub_f32_e32 v9, v9, v5
	s_waitcnt vmcnt(0)
	v_sub_f32_e32 v41, v5, v7
	v_add_f32_e32 v5, v5, v7
	v_sub_f32_e32 v44, v7, v11
	v_sub_f32_e32 v11, v11, v7
	v_add_f32_e32 v7, v7, v22
	v_mov_b32_e32 v22, v21
	v_add_f32_e32 v20, v20, v10
	v_fmac_f32_e32 v22, 0x3f737871, v31
	v_fmac_f32_e32 v21, 0xbf737871, v31
	v_add_f32_e32 v35, v8, v10
	v_sub_f32_e32 v37, v4, v8
	v_sub_f32_e32 v38, v8, v4
	;; [unrolled: 1-line block ×3, first 2 shown]
	v_add_f32_e32 v42, v4, v6
	v_sub_f32_e32 v4, v4, v6
	v_sub_f32_e32 v43, v6, v10
	;; [unrolled: 1-line block ×3, first 2 shown]
	v_add_f32_e32 v6, v6, v20
	v_add_f32_e32 v20, v26, v33
	v_fmac_f32_e32 v22, 0x3f167918, v23
	v_fmac_f32_e32 v21, 0xbf167918, v23
	v_fmac_f32_e32 v0, -0.5, v32
	v_fmac_f32_e32 v22, 0x3e9e377a, v20
	v_fmac_f32_e32 v21, 0x3e9e377a, v20
	v_mov_b32_e32 v20, v0
	v_fmac_f32_e32 v20, 0xbf737871, v23
	v_fmac_f32_e32 v0, 0x3f737871, v23
	v_fma_f32 v23, -0.5, v29, v1
	v_fmac_f32_e32 v1, -0.5, v13
	v_add_f32_e32 v13, v17, v15
	v_mov_b32_e32 v15, v1
	v_mov_b32_e32 v26, v23
	v_fmac_f32_e32 v15, 0x3f737871, v16
	v_fmac_f32_e32 v1, 0xbf737871, v16
	v_add_f32_e32 v14, v27, v14
	v_fmac_f32_e32 v20, 0x3f167918, v31
	v_fmac_f32_e32 v0, 0xbf167918, v31
	;; [unrolled: 1-line block ×6, first 2 shown]
	v_fma_f32 v17, -0.5, v35, v2
	v_fmac_f32_e32 v20, 0x3e9e377a, v14
	v_fmac_f32_e32 v0, 0x3e9e377a, v14
	v_add_f32_e32 v14, v30, v34
	v_fmac_f32_e32 v26, 0xbf167918, v16
	v_fmac_f32_e32 v23, 0x3f167918, v16
	;; [unrolled: 1-line block ×4, first 2 shown]
	v_mov_b32_e32 v13, v17
	v_fmac_f32_e32 v2, -0.5, v42
	v_fmac_f32_e32 v26, 0x3e9e377a, v14
	v_fmac_f32_e32 v23, 0x3e9e377a, v14
	;; [unrolled: 1-line block ×4, first 2 shown]
	v_mov_b32_e32 v14, v2
	v_fmac_f32_e32 v2, 0x3f737871, v36
	v_fma_f32 v27, -0.5, v39, v3
	v_fmac_f32_e32 v3, -0.5, v5
	v_add_f32_e32 v12, v37, v43
	v_fmac_f32_e32 v13, 0x3f167918, v36
	v_fmac_f32_e32 v17, 0xbf167918, v36
	v_add_f32_e32 v10, v38, v10
	v_fmac_f32_e32 v2, 0xbf167918, v41
	v_mov_b32_e32 v16, v3
	v_fmac_f32_e32 v3, 0xbf737871, v8
	v_fmac_f32_e32 v13, 0x3e9e377a, v12
	;; [unrolled: 1-line block ×4, first 2 shown]
	v_mov_b32_e32 v12, v27
	v_add_f32_e32 v5, v9, v11
	v_fmac_f32_e32 v16, 0x3f737871, v8
	v_fmac_f32_e32 v3, 0x3f167918, v4
	;; [unrolled: 1-line block ×5, first 2 shown]
	s_mov_b32 s5, 0x3f737871
	v_fmac_f32_e32 v16, 0xbf167918, v4
	v_fmac_f32_e32 v3, 0x3e9e377a, v5
	v_mul_f32_e32 v4, 0x3e9e377a, v2
	v_fmac_f32_e32 v14, 0x3f167918, v41
	s_mov_b32 s1, 0xbf737871
	v_fmac_f32_e32 v16, 0x3e9e377a, v5
	v_fma_f32 v4, v3, s5, -v4
	v_mul_f32_e32 v3, 0x3e9e377a, v3
	v_fmac_f32_e32 v14, 0x3e9e377a, v10
	v_add_f32_e32 v10, v40, v44
	v_fmac_f32_e32 v12, 0xbf167918, v8
	v_fmac_f32_e32 v27, 0x3f167918, v8
	v_fma_f32 v5, v2, s1, -v3
	v_add_f32_e32 v2, v0, v4
	v_sub_f32_e32 v0, v0, v4
	v_add_f32_e32 v4, v18, v6
	v_sub_f32_e32 v6, v18, v6
	v_mul_f32_e32 v18, 0x3f737871, v16
	v_fmac_f32_e32 v12, 0x3e9e377a, v10
	v_fmac_f32_e32 v27, 0x3e9e377a, v10
	v_add_f32_e32 v3, v1, v5
	v_sub_f32_e32 v1, v1, v5
	v_mul_f32_e32 v10, 0x3f4f1bbd, v13
	v_add_f32_e32 v5, v19, v7
	v_sub_f32_e32 v7, v19, v7
	v_mul_f32_e32 v11, 0xbf167918, v13
	v_fmac_f32_e32 v18, 0x3e9e377a, v14
	v_mul_f32_e32 v19, 0xbf737871, v14
	s_mov_b32 s4, 0x3f167918
	s_mov_b32 s0, 0xbf167918
	v_fmac_f32_e32 v10, 0x3f167918, v12
	v_fmac_f32_e32 v11, 0x3f4f1bbd, v12
	v_add_f32_e32 v12, v20, v18
	v_fmac_f32_e32 v19, 0x3e9e377a, v16
	v_mul_f32_e32 v13, 0x3f4f1bbd, v17
	v_sub_f32_e32 v14, v20, v18
	v_mul_f32_e32 v18, 0x3f4f1bbd, v27
	v_mul_u32_u24_e32 v20, 10, v28
	v_add_f32_e32 v8, v22, v10
	v_add_f32_e32 v9, v26, v11
	v_sub_f32_e32 v10, v22, v10
	v_fma_f32 v22, v27, s4, -v13
	v_add_f32_e32 v13, v15, v19
	v_sub_f32_e32 v15, v15, v19
	v_fma_f32 v19, v17, s0, -v18
	v_lshl_add_u32 v20, v20, 3, 0
	s_movk_i32 s6, 0xcd
	v_sub_f32_e32 v11, v26, v11
	v_add_f32_e32 v16, v21, v22
	v_add_f32_e32 v17, v23, v19
	v_sub_f32_e32 v18, v21, v22
	v_sub_f32_e32 v19, v23, v19
	ds_write2_b64 v20, v[4:5], v[8:9] offset1:1
	ds_write2_b64 v20, v[12:13], v[2:3] offset0:2 offset1:3
	ds_write2_b64 v20, v[16:17], v[6:7] offset0:4 offset1:5
	;; [unrolled: 1-line block ×4, first 2 shown]
	v_mul_lo_u16_sdwa v0, v28, s6 dst_sel:DWORD dst_unused:UNUSED_PAD src0_sel:BYTE_0 src1_sel:DWORD
	v_lshrrev_b16_e32 v23, 11, v0
	v_mul_lo_u16_e32 v0, 10, v23
	v_sub_u16_e32 v26, v28, v0
	v_mov_b32_e32 v0, 9
	v_mul_u32_u24_sdwa v0, v26, v0 dst_sel:DWORD dst_unused:UNUSED_PAD src0_sel:BYTE_0 src1_sel:DWORD
	v_lshlrev_b32_e32 v16, 3, v0
	s_waitcnt lgkmcnt(0)
	s_barrier
	global_load_dwordx4 v[0:3], v16, s[8:9] offset:48
	global_load_dwordx2 v[21:22], v16, s[8:9] offset:64
	global_load_dwordx4 v[4:7], v16, s[8:9] offset:32
	global_load_dwordx4 v[8:11], v16, s[8:9] offset:16
	global_load_dwordx4 v[12:15], v16, s[8:9]
	s_movk_i32 s6, 0xffb8
	v_mad_i32_i24 v27, v28, s6, v20
	v_add_u32_e32 v16, 0x2000, v27
	ds_read2_b64 v[16:19], v16 offset0:16 offset1:146
	v_add_u32_e32 v29, 0x1800, v27
	s_waitcnt vmcnt(4) lgkmcnt(0)
	v_mul_f32_e32 v30, v17, v3
	v_fma_f32 v33, v16, v2, -v30
	s_waitcnt vmcnt(3)
	v_mul_f32_e32 v30, v19, v22
	v_fma_f32 v34, v18, v21, -v30
	ds_read2_b64 v[29:32], v29 offset0:12 offset1:142
	v_mul_f32_e32 v22, v18, v22
	v_fmac_f32_e32 v22, v19, v21
	v_mul_f32_e32 v19, v16, v3
	v_fmac_f32_e32 v19, v17, v2
	s_waitcnt lgkmcnt(0)
	v_mul_f32_e32 v2, v32, v1
	v_mul_f32_e32 v17, v31, v1
	v_fma_f32 v16, v31, v0, -v2
	v_fmac_f32_e32 v17, v32, v0
	v_add_u32_e32 v0, 0x1000, v27
	ds_read2_b64 v[0:3], v0 offset0:8 offset1:138
	s_waitcnt vmcnt(2)
	v_mul_f32_e32 v18, v30, v7
	v_fma_f32 v21, v29, v6, -v18
	v_mul_f32_e32 v29, v29, v7
	v_fmac_f32_e32 v29, v30, v6
	s_waitcnt lgkmcnt(0)
	v_mul_f32_e32 v6, v5, v3
	v_fma_f32 v18, v4, v2, -v6
	v_mul_f32_e32 v30, v5, v2
	v_add_u32_e32 v2, 0x800, v27
	v_fmac_f32_e32 v30, v4, v3
	ds_read2_b64 v[2:5], v2 offset0:4 offset1:134
	s_waitcnt vmcnt(1)
	v_mul_f32_e32 v6, v11, v1
	v_mul_f32_e32 v11, v11, v0
	v_fma_f32 v31, v10, v0, -v6
	v_fmac_f32_e32 v11, v10, v1
	s_waitcnt lgkmcnt(0)
	v_mul_f32_e32 v0, v9, v5
	v_mul_f32_e32 v1, v9, v4
	v_fma_f32 v0, v8, v4, -v0
	v_fmac_f32_e32 v1, v8, v5
	ds_read2_b64 v[4:7], v27 offset1:130
	s_waitcnt vmcnt(0)
	v_mul_f32_e32 v8, v15, v3
	v_fma_f32 v9, v14, v2, -v8
	v_mul_f32_e32 v27, v15, v2
	v_fmac_f32_e32 v27, v14, v3
	s_waitcnt lgkmcnt(0)
	v_mul_f32_e32 v2, v13, v7
	v_fma_f32 v32, v12, v6, -v2
	v_add_f32_e32 v2, v31, v21
	v_mul_f32_e32 v13, v13, v6
	v_fma_f32 v3, -0.5, v2, v4
	v_add_f32_e32 v2, v9, v33
	v_fmac_f32_e32 v13, v12, v7
	v_fma_f32 v7, -0.5, v2, v4
	v_add_f32_e32 v2, v11, v29
	v_fma_f32 v35, -0.5, v2, v5
	v_add_f32_e32 v2, v27, v19
	;; [unrolled: 2-line block ×3, first 2 shown]
	v_sub_f32_e32 v4, v9, v31
	v_sub_f32_e32 v6, v33, v21
	v_add_f32_e32 v4, v4, v6
	v_sub_f32_e32 v6, v27, v19
	v_mov_b32_e32 v8, v3
	v_fmac_f32_e32 v8, 0x3f737871, v6
	v_sub_f32_e32 v10, v11, v29
	v_fmac_f32_e32 v3, 0xbf737871, v6
	v_fmac_f32_e32 v8, 0x3f167918, v10
	;; [unrolled: 1-line block ×5, first 2 shown]
	v_sub_f32_e32 v4, v31, v9
	v_sub_f32_e32 v12, v21, v33
	v_add_f32_e32 v4, v4, v12
	v_mov_b32_e32 v12, v7
	v_fmac_f32_e32 v12, 0xbf737871, v10
	v_fmac_f32_e32 v7, 0x3f737871, v10
	;; [unrolled: 1-line block ×6, first 2 shown]
	v_sub_f32_e32 v4, v0, v18
	v_sub_f32_e32 v6, v34, v16
	v_add_f32_e32 v4, v4, v6
	v_add_f32_e32 v6, v18, v16
	v_fma_f32 v37, -0.5, v6, v32
	v_sub_f32_e32 v6, v1, v22
	v_mov_b32_e32 v38, v37
	v_fmac_f32_e32 v38, 0x3f737871, v6
	v_sub_f32_e32 v10, v30, v17
	v_fmac_f32_e32 v37, 0xbf737871, v6
	v_fmac_f32_e32 v38, 0x3f167918, v10
	;; [unrolled: 1-line block ×3, first 2 shown]
	v_add_f32_e32 v14, v0, v34
	v_fmac_f32_e32 v38, 0x3e9e377a, v4
	v_fmac_f32_e32 v37, 0x3e9e377a, v4
	v_add_f32_e32 v4, v32, v0
	v_fmac_f32_e32 v32, -0.5, v14
	v_mov_b32_e32 v39, v32
	v_fmac_f32_e32 v39, 0xbf737871, v10
	v_fmac_f32_e32 v32, 0x3f737871, v10
	v_sub_f32_e32 v14, v18, v0
	v_sub_f32_e32 v15, v16, v34
	v_fmac_f32_e32 v39, 0x3f167918, v6
	v_fmac_f32_e32 v32, 0xbf167918, v6
	v_add_f32_e32 v4, v4, v18
	v_sub_f32_e32 v6, v1, v30
	v_sub_f32_e32 v10, v22, v17
	v_add_f32_e32 v14, v14, v15
	v_add_f32_e32 v4, v4, v16
	;; [unrolled: 1-line block ×4, first 2 shown]
	v_fmac_f32_e32 v39, 0x3e9e377a, v14
	v_fmac_f32_e32 v32, 0x3e9e377a, v14
	v_add_f32_e32 v14, v4, v34
	v_sub_f32_e32 v0, v0, v34
	v_fma_f32 v34, -0.5, v10, v13
	v_mov_b32_e32 v40, v34
	v_sub_f32_e32 v4, v18, v16
	v_fmac_f32_e32 v40, 0xbf737871, v0
	v_fmac_f32_e32 v34, 0x3f737871, v0
	;; [unrolled: 1-line block ×6, first 2 shown]
	v_add_f32_e32 v6, v1, v22
	v_add_f32_e32 v15, v13, v1
	v_fmac_f32_e32 v13, -0.5, v6
	v_mov_b32_e32 v41, v13
	v_sub_f32_e32 v1, v30, v1
	v_sub_f32_e32 v6, v17, v22
	v_fmac_f32_e32 v41, 0x3f737871, v4
	v_add_f32_e32 v1, v1, v6
	v_fmac_f32_e32 v13, 0xbf737871, v4
	v_fmac_f32_e32 v41, 0xbf167918, v0
	;; [unrolled: 1-line block ×4, first 2 shown]
	v_add_f32_e32 v0, v2, v31
	v_add_f32_e32 v0, v0, v21
	v_mul_f32_e32 v4, 0x3f167918, v40
	v_mul_f32_e32 v10, 0x3f737871, v41
	v_fmac_f32_e32 v13, 0x3e9e377a, v1
	v_add_f32_e32 v1, v0, v33
	v_fmac_f32_e32 v4, 0x3f4f1bbd, v38
	v_fmac_f32_e32 v10, 0x3e9e377a, v39
	v_mul_f32_e32 v6, 0x3e9e377a, v32
	v_add_f32_e32 v0, v1, v14
	v_add_f32_e32 v2, v8, v4
	v_fma_f32 v16, v13, s5, -v6
	v_sub_f32_e32 v4, v8, v4
	v_sub_f32_e32 v6, v12, v10
	v_add_f32_e32 v8, v12, v10
	v_mul_f32_e32 v12, 0x3f4f1bbd, v37
	v_sub_f32_e32 v14, v1, v14
	v_add_f32_e32 v1, v15, v30
	v_add_f32_e32 v5, v5, v27
	v_fma_f32 v18, v34, s4, -v12
	v_add_f32_e32 v1, v1, v17
	v_add_f32_e32 v12, v3, v18
	v_sub_f32_e32 v18, v3, v18
	v_add_f32_e32 v3, v1, v22
	v_add_f32_e32 v1, v5, v11
	;; [unrolled: 1-line block ×4, first 2 shown]
	v_sub_f32_e32 v16, v7, v16
	v_add_f32_e32 v5, v1, v19
	v_sub_f32_e32 v22, v9, v33
	v_mov_b32_e32 v7, v35
	v_add_f32_e32 v1, v5, v3
	v_sub_f32_e32 v15, v5, v3
	v_sub_f32_e32 v21, v31, v21
	;; [unrolled: 1-line block ×4, first 2 shown]
	v_fmac_f32_e32 v7, 0xbf737871, v22
	v_add_f32_e32 v30, v3, v5
	v_mul_f32_e32 v5, 0xbf167918, v38
	v_fmac_f32_e32 v7, 0xbf167918, v21
	v_fmac_f32_e32 v5, 0x3f4f1bbd, v40
	;; [unrolled: 1-line block ×3, first 2 shown]
	v_mov_b32_e32 v17, v36
	v_add_f32_e32 v3, v7, v5
	v_sub_f32_e32 v5, v7, v5
	v_sub_f32_e32 v7, v11, v27
	;; [unrolled: 1-line block ×3, first 2 shown]
	v_fmac_f32_e32 v17, 0x3f737871, v21
	v_fmac_f32_e32 v36, 0xbf737871, v21
	v_add_f32_e32 v11, v7, v9
	v_fmac_f32_e32 v17, 0xbf167918, v22
	v_fmac_f32_e32 v36, 0x3f167918, v22
	v_mul_f32_e32 v7, 0xbf737871, v39
	v_fmac_f32_e32 v17, 0x3e9e377a, v11
	v_fmac_f32_e32 v36, 0x3e9e377a, v11
	v_mul_f32_e32 v11, 0x3e9e377a, v13
	v_fmac_f32_e32 v7, 0x3e9e377a, v41
	v_fma_f32 v13, v32, s1, -v11
	v_fmac_f32_e32 v35, 0x3f737871, v22
	v_add_f32_e32 v9, v17, v7
	v_sub_f32_e32 v7, v17, v7
	v_add_f32_e32 v11, v36, v13
	v_sub_f32_e32 v17, v36, v13
	v_fmac_f32_e32 v35, 0x3f167918, v21
	v_mul_f32_e32 v13, 0x3f4f1bbd, v34
	v_mov_b32_e32 v21, 3
	v_fmac_f32_e32 v35, 0x3e9e377a, v30
	v_fma_f32 v19, v37, s0, -v13
	v_lshlrev_b32_sdwa v21, v21, v26 dst_sel:DWORD dst_unused:UNUSED_PAD src0_sel:DWORD src1_sel:BYTE_0
	v_mul_u32_u24_e32 v22, 0x320, v23
	s_movk_i32 s0, 0x64
	v_add_f32_e32 v13, v35, v19
	v_sub_f32_e32 v19, v35, v19
	v_add3_u32 v21, 0, v22, v21
	v_cmp_gt_u32_e64 s[0:1], s0, v28
	s_barrier
	ds_write2_b64 v21, v[0:1], v[2:3] offset1:10
	ds_write2_b64 v21, v[8:9], v[10:11] offset0:20 offset1:30
	ds_write2_b64 v21, v[12:13], v[14:15] offset0:40 offset1:50
	;; [unrolled: 1-line block ×4, first 2 shown]
	s_waitcnt lgkmcnt(0)
	s_barrier
	s_waitcnt lgkmcnt(0)
                                        ; implicit-def: $vgpr27
                                        ; implicit-def: $vgpr23
	s_and_saveexec_b64 s[4:5], s[0:1]
	s_cbranch_execnz .LBB0_14
; %bb.12:
	s_or_b64 exec, exec, s[4:5]
	s_and_b64 s[0:1], vcc, s[0:1]
	s_and_saveexec_b64 s[4:5], s[0:1]
	s_cbranch_execnz .LBB0_15
.LBB0_13:
	s_endpgm
.LBB0_14:
	v_mul_i32_i24_e32 v0, 0xffffffb8, v28
	v_add_u32_e32 v26, v20, v0
	v_add_u32_e32 v4, 0x400, v26
	ds_read2_b64 v[8:11], v4 offset0:72 offset1:172
	v_add_u32_e32 v4, 0x800, v26
	ds_read2_b64 v[12:15], v4 offset0:144 offset1:244
	v_add_u32_e32 v4, 0x1000, v26
	v_add_u32_e32 v16, 0x1800, v26
	;; [unrolled: 1-line block ×3, first 2 shown]
	ds_read2_b64 v[0:3], v26 offset1:100
	ds_read2_b64 v[4:7], v4 offset0:88 offset1:188
	ds_read2_b64 v[16:19], v16 offset0:32 offset1:132
	;; [unrolled: 1-line block ×3, first 2 shown]
	ds_read_b64 v[26:27], v26 offset:9600
	s_or_b64 exec, exec, s[4:5]
	s_and_b64 s[0:1], vcc, s[0:1]
	s_and_saveexec_b64 s[4:5], s[0:1]
	s_cbranch_execz .LBB0_13
.LBB0_15:
	v_mul_u32_u24_e32 v29, 12, v28
	v_lshlrev_b32_e32 v53, 3, v29
	global_load_dwordx4 v[29:32], v53, s[8:9] offset:800
	global_load_dwordx4 v[33:36], v53, s[8:9] offset:720
	;; [unrolled: 1-line block ×6, first 2 shown]
	s_mov_b32 s0, 0xbf788fa5
	s_mov_b32 s1, 0x3f62ad3f
	;; [unrolled: 1-line block ×6, first 2 shown]
	s_waitcnt vmcnt(5) lgkmcnt(0)
	v_mul_f32_e32 v53, v27, v32
	v_mul_f32_e32 v54, v23, v30
	;; [unrolled: 1-line block ×3, first 2 shown]
	s_waitcnt vmcnt(4)
	v_mul_f32_e32 v55, v3, v34
	v_mul_f32_e32 v32, v26, v32
	v_mul_f32_e32 v56, v9, v36
	s_waitcnt vmcnt(2)
	v_mul_f32_e32 v59, v13, v44
	v_mul_f32_e32 v60, v19, v38
	;; [unrolled: 1-line block ×3, first 2 shown]
	v_fma_f32 v26, v26, v31, -v53
	v_fmac_f32_e32 v30, v23, v29
	v_fma_f32 v23, v2, v33, -v55
	v_mul_f32_e32 v34, v2, v34
	v_mul_f32_e32 v57, v21, v40
	;; [unrolled: 1-line block ×5, first 2 shown]
	s_waitcnt vmcnt(0)
	v_mul_f32_e32 v62, v15, v50
	v_mul_f32_e32 v50, v14, v50
	v_fmac_f32_e32 v32, v27, v31
	v_fma_f32 v22, v22, v29, -v54
	v_fma_f32 v27, v8, v35, -v56
	v_fmac_f32_e32 v38, v19, v37
	v_fma_f32 v19, v12, v43, -v59
	v_sub_f32_e32 v12, v23, v26
	v_mul_f32_e32 v36, v8, v36
	v_mul_f32_e32 v61, v17, v48
	v_mul_f32_e32 v48, v16, v48
	v_mul_f32_e32 v63, v5, v52
	v_mul_f32_e32 v52, v4, v52
	v_fmac_f32_e32 v34, v3, v33
	v_fma_f32 v20, v20, v39, -v57
	v_fmac_f32_e32 v40, v21, v39
	v_fma_f32 v21, v10, v41, -v58
	;; [unrolled: 2-line block ×3, first 2 shown]
	v_fmac_f32_e32 v50, v15, v49
	v_sub_f32_e32 v13, v27, v22
	v_mul_f32_e32 v49, 0xbe750f2a, v12
	v_mul_f32_e32 v42, v10, v42
	;; [unrolled: 1-line block ×4, first 2 shown]
	v_fmac_f32_e32 v36, v9, v35
	v_fma_f32 v16, v16, v47, -v61
	v_fmac_f32_e32 v48, v17, v47
	v_fma_f32 v15, v4, v51, -v63
	v_fmac_f32_e32 v52, v5, v51
	v_add_f32_e32 v29, v34, v32
	v_sub_f32_e32 v33, v21, v20
	v_sub_f32_e32 v47, v34, v32
	v_mul_f32_e32 v51, 0x3eedf032, v13
	v_mov_b32_e32 v2, v49
	v_fmac_f32_e32 v42, v11, v41
	v_fma_f32 v17, v6, v45, -v64
	v_fmac_f32_e32 v46, v7, v45
	v_add_f32_e32 v31, v36, v30
	v_add_f32_e32 v45, v23, v26
	v_mul_f32_e32 v53, 0xbf29c268, v33
	v_mul_f32_e32 v56, 0xbe750f2a, v47
	v_mov_b32_e32 v3, v51
	v_fmac_f32_e32 v2, 0xbf788fa5, v29
	v_sub_f32_e32 v58, v36, v30
	v_fma_f32 v18, v18, v37, -v60
	v_add_f32_e32 v35, v42, v40
	v_mov_b32_e32 v4, v53
	v_fma_f32 v7, v45, s0, -v56
	v_fmac_f32_e32 v3, 0x3f62ad3f, v31
	v_add_f32_e32 v2, v1, v2
	v_add_f32_e32 v57, v27, v22
	v_mul_f32_e32 v59, 0x3eedf032, v58
	v_sub_f32_e32 v61, v42, v40
	v_sub_f32_e32 v37, v19, v18
	v_fmac_f32_e32 v4, 0xbf3f9e67, v35
	v_add_f32_e32 v7, v0, v7
	v_add_f32_e32 v2, v2, v3
	v_fma_f32 v3, v57, s1, -v59
	v_add_f32_e32 v60, v21, v20
	v_mul_f32_e32 v62, 0xbf29c268, v61
	v_sub_f32_e32 v64, v44, v38
	v_sub_f32_e32 v41, v14, v16
	v_mul_f32_e32 v54, 0x3f52af12, v37
	v_add_f32_e32 v2, v2, v4
	v_add_f32_e32 v3, v7, v3
	v_fma_f32 v4, v60, s4, -v62
	v_add_f32_e32 v63, v19, v18
	v_mul_f32_e32 v65, 0x3f52af12, v64
	v_sub_f32_e32 v67, v50, v48
	v_add_f32_e32 v39, v44, v38
	v_mul_f32_e32 v55, 0xbf6f5d39, v41
	v_mov_b32_e32 v5, v54
	v_add_f32_e32 v3, v3, v4
	v_fma_f32 v4, v63, s5, -v65
	v_add_f32_e32 v66, v14, v16
	v_mul_f32_e32 v68, 0xbf6f5d39, v67
	v_sub_f32_e32 v69, v15, v17
	v_add_f32_e32 v43, v50, v48
	v_mov_b32_e32 v6, v55
	v_fmac_f32_e32 v5, 0x3f116cb1, v39
	v_add_f32_e32 v3, v3, v4
	v_fma_f32 v4, v66, s6, -v68
	v_mul_f32_e32 v70, 0x3f7e222b, v69
	v_fmac_f32_e32 v6, 0xbeb58ec6, v43
	v_add_f32_e32 v2, v2, v5
	v_add_f32_e32 v4, v3, v4
	;; [unrolled: 1-line block ×3, first 2 shown]
	v_mov_b32_e32 v3, v70
	v_sub_f32_e32 v73, v52, v46
	v_add_f32_e32 v2, v2, v6
	v_fmac_f32_e32 v3, 0x3df6dbef, v71
	v_add_f32_e32 v72, v15, v17
	v_mul_f32_e32 v74, 0x3f7e222b, v73
	v_add_f32_e32 v3, v2, v3
	v_fma_f32 v2, v72, s7, -v74
	v_mul_f32_e32 v75, 0xbf29c268, v12
	v_add_f32_e32 v2, v4, v2
	v_mov_b32_e32 v4, v75
	v_mul_f32_e32 v76, 0x3f7e222b, v13
	v_fmac_f32_e32 v4, 0xbf3f9e67, v29
	v_mov_b32_e32 v5, v76
	v_add_f32_e32 v4, v1, v4
	v_fmac_f32_e32 v5, 0x3df6dbef, v31
	v_mul_f32_e32 v77, 0xbf52af12, v33
	v_add_f32_e32 v4, v4, v5
	v_mov_b32_e32 v5, v77
	v_fmac_f32_e32 v5, 0x3f116cb1, v35
	v_mul_f32_e32 v78, 0x3e750f2a, v37
	v_add_f32_e32 v4, v4, v5
	v_mov_b32_e32 v5, v78
	;; [unrolled: 4-line block ×3, first 2 shown]
	v_fmac_f32_e32 v5, 0x3f62ad3f, v43
	v_mul_f32_e32 v80, 0xbf29c268, v47
	v_add_f32_e32 v4, v4, v5
	v_fma_f32 v5, v45, s4, -v80
	v_mul_f32_e32 v81, 0x3f7e222b, v58
	v_add_f32_e32 v5, v0, v5
	v_fma_f32 v6, v57, s7, -v81
	v_mul_f32_e32 v82, 0xbf52af12, v61
	v_add_f32_e32 v5, v5, v6
	v_fma_f32 v6, v60, s5, -v82
	v_mul_f32_e32 v83, 0x3e750f2a, v64
	v_add_f32_e32 v5, v5, v6
	v_fma_f32 v6, v63, s0, -v83
	v_mul_f32_e32 v84, 0x3eedf032, v67
	v_add_f32_e32 v5, v5, v6
	v_fma_f32 v6, v66, s1, -v84
	v_mul_f32_e32 v85, 0xbf6f5d39, v69
	v_add_f32_e32 v6, v5, v6
	v_mov_b32_e32 v5, v85
	v_fmac_f32_e32 v5, 0xbeb58ec6, v71
	v_mul_f32_e32 v86, 0xbf6f5d39, v73
	v_add_f32_e32 v5, v4, v5
	v_fma_f32 v4, v72, s6, -v86
	v_mul_f32_e32 v87, 0xbf6f5d39, v12
	v_add_f32_e32 v4, v6, v4
	v_mov_b32_e32 v6, v87
	v_mul_f32_e32 v88, 0x3f29c268, v13
	v_fmac_f32_e32 v6, 0xbeb58ec6, v29
	v_mov_b32_e32 v7, v88
	v_add_f32_e32 v6, v1, v6
	v_fmac_f32_e32 v7, 0xbf3f9e67, v31
	v_mul_f32_e32 v89, 0x3eedf032, v33
	v_add_f32_e32 v6, v6, v7
	v_mov_b32_e32 v7, v89
	v_fmac_f32_e32 v7, 0x3f62ad3f, v35
	v_mul_f32_e32 v90, 0xbf7e222b, v37
	v_add_f32_e32 v6, v6, v7
	v_mov_b32_e32 v7, v90
	;; [unrolled: 4-line block ×3, first 2 shown]
	v_fmac_f32_e32 v7, 0xbf788fa5, v43
	v_mul_f32_e32 v92, 0xbf6f5d39, v47
	v_add_f32_e32 v6, v6, v7
	v_fma_f32 v7, v45, s6, -v92
	v_mul_f32_e32 v93, 0x3f29c268, v58
	v_add_f32_e32 v23, v0, v23
	v_add_f32_e32 v7, v0, v7
	v_fma_f32 v8, v57, s4, -v93
	v_mul_f32_e32 v94, 0x3eedf032, v61
	v_add_f32_e32 v23, v23, v27
	;; [unrolled: 4-line block ×5, first 2 shown]
	v_add_f32_e32 v8, v7, v8
	v_mov_b32_e32 v7, v97
	v_add_f32_e32 v14, v14, v15
	v_fmac_f32_e32 v7, 0x3f116cb1, v71
	v_mul_f32_e32 v98, 0x3f52af12, v73
	v_add_f32_e32 v14, v14, v17
	v_add_f32_e32 v7, v6, v7
	v_fma_f32 v6, v72, s5, -v98
	v_mul_f32_e32 v99, 0xbf7e222b, v12
	v_add_f32_e32 v14, v16, v14
	v_fma_f32 v16, v29, s0, -v49
	v_add_f32_e32 v6, v8, v6
	v_mov_b32_e32 v8, v99
	v_mul_f32_e32 v100, 0xbe750f2a, v13
	v_add_f32_e32 v16, v1, v16
	v_fma_f32 v17, v31, s1, -v51
	v_fmac_f32_e32 v8, 0x3df6dbef, v29
	v_mov_b32_e32 v9, v100
	v_add_f32_e32 v16, v16, v17
	v_fma_f32 v17, v35, s4, -v53
	v_add_f32_e32 v8, v1, v8
	v_fmac_f32_e32 v9, 0xbf788fa5, v31
	v_mul_f32_e32 v101, 0x3f6f5d39, v33
	v_add_f32_e32 v16, v16, v17
	v_fma_f32 v17, v39, s5, -v54
	v_add_f32_e32 v8, v8, v9
	v_mov_b32_e32 v9, v101
	v_add_f32_e32 v16, v16, v17
	v_fma_f32 v17, v43, s6, -v55
	v_fmac_f32_e32 v56, 0xbf788fa5, v45
	v_fmac_f32_e32 v9, 0xbeb58ec6, v35
	v_mul_f32_e32 v102, 0x3eedf032, v37
	v_add_f32_e32 v16, v16, v17
	v_add_f32_e32 v17, v0, v56
	v_fmac_f32_e32 v59, 0x3f62ad3f, v57
	v_add_f32_e32 v8, v8, v9
	v_mov_b32_e32 v9, v102
	v_add_f32_e32 v17, v17, v59
	v_fmac_f32_e32 v62, 0xbf3f9e67, v60
	v_fmac_f32_e32 v9, 0x3f62ad3f, v39
	v_mul_f32_e32 v103, 0xbf52af12, v41
	v_add_f32_e32 v17, v17, v62
	v_fmac_f32_e32 v65, 0x3f116cb1, v63
	v_add_f32_e32 v8, v8, v9
	v_mov_b32_e32 v9, v103
	v_add_f32_e32 v17, v17, v65
	v_fmac_f32_e32 v68, 0xbeb58ec6, v66
	v_fmac_f32_e32 v9, 0x3f116cb1, v43
	v_mul_f32_e32 v104, 0xbf7e222b, v47
	v_add_f32_e32 v14, v18, v14
	v_add_f32_e32 v18, v17, v68
	v_fma_f32 v17, v71, s7, -v70
	v_fmac_f32_e32 v74, 0x3df6dbef, v72
	v_add_f32_e32 v8, v8, v9
	v_fma_f32 v9, v45, s7, -v104
	v_mul_f32_e32 v105, 0xbe750f2a, v58
	v_add_f32_e32 v17, v16, v17
	v_add_f32_e32 v16, v18, v74
	v_fma_f32 v18, v29, s4, -v75
	v_add_f32_e32 v9, v0, v9
	v_fma_f32 v10, v57, s0, -v105
	v_mul_f32_e32 v106, 0x3f6f5d39, v61
	v_add_f32_e32 v18, v1, v18
	v_fma_f32 v19, v31, s7, -v76
	v_add_f32_e32 v9, v9, v10
	v_fma_f32 v10, v60, s6, -v106
	v_mul_f32_e32 v107, 0x3eedf032, v64
	;; [unrolled: 5-line block ×4, first 2 shown]
	v_add_f32_e32 v18, v18, v19
	v_fma_f32 v19, v43, s1, -v79
	v_fmac_f32_e32 v80, 0xbf3f9e67, v45
	v_add_f32_e32 v10, v9, v10
	v_mov_b32_e32 v9, v109
	v_add_f32_e32 v18, v18, v19
	v_add_f32_e32 v19, v0, v80
	v_fmac_f32_e32 v81, 0x3df6dbef, v57
	v_fmac_f32_e32 v9, 0xbf3f9e67, v71
	v_mul_f32_e32 v110, 0xbf29c268, v73
	v_add_f32_e32 v19, v19, v81
	v_fmac_f32_e32 v82, 0x3f116cb1, v60
	v_add_f32_e32 v9, v8, v9
	v_fma_f32 v8, v72, s4, -v110
	v_mul_f32_e32 v111, 0xbf52af12, v12
	v_add_f32_e32 v19, v19, v82
	v_fmac_f32_e32 v83, 0xbf788fa5, v63
	v_add_f32_e32 v8, v10, v8
	v_mov_b32_e32 v10, v111
	v_mul_f32_e32 v112, 0xbf6f5d39, v13
	v_add_f32_e32 v19, v19, v83
	v_fmac_f32_e32 v84, 0x3f62ad3f, v66
	v_fmac_f32_e32 v10, 0x3f116cb1, v29
	v_mov_b32_e32 v11, v112
	v_add_f32_e32 v14, v20, v14
	v_add_f32_e32 v20, v19, v84
	v_fma_f32 v19, v71, s6, -v85
	v_fmac_f32_e32 v86, 0xbeb58ec6, v72
	v_add_f32_e32 v10, v1, v10
	v_fmac_f32_e32 v11, 0xbeb58ec6, v31
	v_mul_f32_e32 v113, 0xbe750f2a, v33
	v_add_f32_e32 v19, v18, v19
	v_add_f32_e32 v18, v20, v86
	v_fma_f32 v20, v29, s6, -v87
	v_add_f32_e32 v10, v10, v11
	v_mov_b32_e32 v11, v113
	v_add_f32_e32 v20, v1, v20
	v_fma_f32 v21, v31, s4, -v88
	v_fmac_f32_e32 v11, 0xbf788fa5, v35
	v_mul_f32_e32 v114, 0x3f29c268, v37
	v_add_f32_e32 v20, v20, v21
	v_fma_f32 v21, v35, s1, -v89
	v_add_f32_e32 v10, v10, v11
	v_mov_b32_e32 v11, v114
	v_add_f32_e32 v20, v20, v21
	v_fma_f32 v21, v39, s7, -v90
	v_fmac_f32_e32 v11, 0xbf3f9e67, v39
	v_mul_f32_e32 v115, 0x3f7e222b, v41
	v_add_f32_e32 v20, v20, v21
	v_fma_f32 v21, v43, s0, -v91
	v_fmac_f32_e32 v92, 0xbeb58ec6, v45
	v_add_f32_e32 v10, v10, v11
	v_mov_b32_e32 v11, v115
	v_add_f32_e32 v20, v20, v21
	v_add_f32_e32 v21, v0, v92
	v_fmac_f32_e32 v93, 0xbf3f9e67, v57
	v_fmac_f32_e32 v11, 0x3df6dbef, v43
	v_mul_f32_e32 v116, 0xbf52af12, v47
	v_add_f32_e32 v21, v21, v93
	v_fmac_f32_e32 v94, 0x3f62ad3f, v60
	v_add_f32_e32 v10, v10, v11
	v_fma_f32 v11, v45, s5, -v116
	v_mul_f32_e32 v117, 0xbf6f5d39, v58
	v_add_f32_e32 v21, v21, v94
	v_fmac_f32_e32 v95, 0x3df6dbef, v63
	v_add_f32_e32 v11, v0, v11
	v_fma_f32 v118, v57, s6, -v117
	v_add_f32_e32 v21, v21, v95
	v_fmac_f32_e32 v96, 0xbf788fa5, v66
	v_add_f32_e32 v11, v11, v118
	v_mul_f32_e32 v118, 0xbe750f2a, v61
	v_add_f32_e32 v14, v22, v14
	v_add_f32_e32 v22, v21, v96
	v_fma_f32 v21, v71, s5, -v97
	v_fmac_f32_e32 v98, 0x3f116cb1, v72
	v_fma_f32 v119, v60, s0, -v118
	v_add_f32_e32 v21, v20, v21
	v_add_f32_e32 v20, v22, v98
	v_fma_f32 v22, v29, s7, -v99
	v_add_f32_e32 v11, v11, v119
	v_mul_f32_e32 v119, 0x3f29c268, v64
	v_add_f32_e32 v22, v1, v22
	v_fma_f32 v23, v31, s0, -v100
	v_fma_f32 v120, v63, s4, -v119
	v_add_f32_e32 v22, v22, v23
	v_fma_f32 v23, v35, s6, -v101
	v_add_f32_e32 v11, v11, v120
	v_mul_f32_e32 v120, 0x3f7e222b, v67
	v_add_f32_e32 v22, v22, v23
	v_fma_f32 v23, v39, s1, -v102
	v_fma_f32 v121, v66, s7, -v120
	v_mul_f32_e32 v122, 0x3eedf032, v69
	v_add_f32_e32 v22, v22, v23
	v_fma_f32 v23, v43, s5, -v103
	v_fmac_f32_e32 v104, 0x3df6dbef, v45
	v_add_f32_e32 v121, v11, v121
	v_mov_b32_e32 v11, v122
	v_add_f32_e32 v22, v22, v23
	v_add_f32_e32 v23, v0, v104
	v_fmac_f32_e32 v105, 0xbf788fa5, v57
	v_fmac_f32_e32 v11, 0x3f62ad3f, v71
	v_mul_f32_e32 v123, 0x3eedf032, v73
	v_add_f32_e32 v23, v23, v105
	v_fmac_f32_e32 v106, 0xbeb58ec6, v60
	v_add_f32_e32 v11, v10, v11
	v_fma_f32 v10, v72, s1, -v123
	v_add_f32_e32 v23, v23, v106
	v_fmac_f32_e32 v107, 0x3f62ad3f, v63
	v_add_f32_e32 v10, v121, v10
	v_mul_f32_e32 v121, 0xbeedf032, v12
	v_add_f32_e32 v34, v1, v34
	v_add_f32_e32 v23, v23, v107
	v_fmac_f32_e32 v108, 0x3f116cb1, v66
	v_mov_b32_e32 v12, v121
	v_mul_f32_e32 v124, 0xbf52af12, v13
	v_add_f32_e32 v34, v34, v36
	v_add_f32_e32 v14, v26, v14
	;; [unrolled: 1-line block ×3, first 2 shown]
	v_fma_f32 v23, v71, s4, -v109
	v_fmac_f32_e32 v110, 0xbf3f9e67, v72
	v_fmac_f32_e32 v12, 0x3f62ad3f, v29
	v_mov_b32_e32 v13, v124
	v_add_f32_e32 v34, v34, v42
	v_add_f32_e32 v23, v22, v23
	;; [unrolled: 1-line block ×3, first 2 shown]
	v_fma_f32 v26, v29, s5, -v111
	v_add_f32_e32 v12, v1, v12
	v_fmac_f32_e32 v13, 0x3f116cb1, v31
	v_mul_f32_e32 v33, 0xbf7e222b, v33
	v_add_f32_e32 v34, v34, v44
	v_add_f32_e32 v26, v1, v26
	v_fma_f32 v27, v31, s6, -v112
	v_add_f32_e32 v12, v12, v13
	v_mov_b32_e32 v13, v33
	v_add_f32_e32 v34, v34, v50
	v_add_f32_e32 v26, v26, v27
	v_fma_f32 v27, v35, s0, -v113
	v_fmac_f32_e32 v13, 0x3df6dbef, v35
	v_mul_f32_e32 v37, 0xbf6f5d39, v37
	v_add_f32_e32 v34, v34, v52
	v_add_f32_e32 v26, v26, v27
	v_fma_f32 v27, v39, s4, -v114
	v_add_f32_e32 v12, v12, v13
	v_mov_b32_e32 v13, v37
	v_add_f32_e32 v34, v34, v46
	v_add_f32_e32 v26, v26, v27
	v_fma_f32 v27, v43, s7, -v115
	v_fmac_f32_e32 v116, 0x3f116cb1, v45
	v_fmac_f32_e32 v13, 0xbeb58ec6, v39
	v_mul_f32_e32 v41, 0xbf29c268, v41
	v_add_f32_e32 v34, v48, v34
	v_add_f32_e32 v26, v26, v27
	;; [unrolled: 1-line block ×3, first 2 shown]
	v_fmac_f32_e32 v117, 0xbeb58ec6, v57
	v_add_f32_e32 v12, v12, v13
	v_mov_b32_e32 v13, v41
	v_add_f32_e32 v34, v38, v34
	v_add_f32_e32 v27, v27, v117
	v_fmac_f32_e32 v118, 0xbf788fa5, v60
	v_fmac_f32_e32 v13, 0xbf3f9e67, v43
	v_mul_f32_e32 v47, 0xbeedf032, v47
	v_add_f32_e32 v34, v40, v34
	v_add_f32_e32 v27, v27, v118
	v_fmac_f32_e32 v119, 0xbf3f9e67, v63
	v_add_f32_e32 v12, v12, v13
	v_fma_f32 v13, v45, s1, -v47
	v_mul_f32_e32 v58, 0xbf52af12, v58
	v_add_f32_e32 v30, v30, v34
	v_add_f32_e32 v27, v27, v119
	v_fmac_f32_e32 v120, 0x3df6dbef, v66
	v_add_f32_e32 v13, v0, v13
	v_fma_f32 v125, v57, s5, -v58
	v_mul_f32_e32 v61, 0xbf7e222b, v61
	v_add_f32_e32 v15, v32, v30
	v_add_f32_e32 v30, v27, v120
	v_fma_f32 v27, v71, s1, -v122
	v_fmac_f32_e32 v123, 0x3f62ad3f, v72
	v_fma_f32 v29, v29, s1, -v121
	v_add_f32_e32 v13, v13, v125
	v_fma_f32 v125, v60, s7, -v61
	v_mul_f32_e32 v64, 0xbf6f5d39, v64
	v_add_f32_e32 v27, v26, v27
	v_add_f32_e32 v26, v30, v123
	v_fma_f32 v30, v31, s5, -v124
	v_add_f32_e32 v1, v1, v29
	v_add_f32_e32 v13, v13, v125
	v_fma_f32 v125, v63, s6, -v64
	v_mul_f32_e32 v67, 0xbf29c268, v67
	v_add_f32_e32 v1, v1, v30
	v_fma_f32 v29, v35, s7, -v33
	v_add_f32_e32 v13, v13, v125
	v_fma_f32 v125, v66, s4, -v67
	v_mul_f32_e32 v69, 0xbe750f2a, v69
	v_add_f32_e32 v1, v1, v29
	v_fma_f32 v29, v39, s6, -v37
	v_add_f32_e32 v125, v13, v125
	v_mov_b32_e32 v13, v69
	v_add_f32_e32 v1, v1, v29
	v_fma_f32 v29, v43, s4, -v41
	v_fmac_f32_e32 v13, 0xbf788fa5, v71
	v_mul_f32_e32 v73, 0xbe750f2a, v73
	v_add_f32_e32 v1, v1, v29
	v_fma_f32 v29, v71, s0, -v69
	v_add_f32_e32 v13, v12, v13
	v_fma_f32 v12, v72, s0, -v73
	v_fmac_f32_e32 v47, 0x3f62ad3f, v45
	v_add_f32_e32 v1, v1, v29
	v_mad_u64_u32 v[29:30], s[0:1], s2, v28, 0
	v_add_f32_e32 v0, v0, v47
	v_fmac_f32_e32 v58, 0x3f116cb1, v57
	v_add_f32_e32 v0, v0, v58
	v_fmac_f32_e32 v61, 0x3df6dbef, v60
	;; [unrolled: 2-line block ×3, first 2 shown]
	v_add_f32_e32 v32, v0, v64
	v_mov_b32_e32 v0, v30
	v_mad_u64_u32 v[30:31], s[0:1], s3, v28, v[0:1]
	v_mov_b32_e32 v31, s13
	v_add_co_u32_e32 v33, vcc, s12, v24
	v_addc_co_u32_e32 v34, vcc, v31, v25, vcc
	v_add_u32_e32 v31, 0x64, v28
	v_lshlrev_b64 v[24:25], 3, v[29:30]
	v_mad_u64_u32 v[29:30], s[0:1], s2, v31, 0
	v_fmac_f32_e32 v67, 0xbf3f9e67, v66
	v_add_u32_e32 v35, 0xc8, v28
	v_mad_u64_u32 v[30:31], s[0:1], s3, v31, v[30:31]
	v_add_f32_e32 v0, v32, v67
	v_mad_u64_u32 v[31:32], s[0:1], s2, v35, 0
	v_add_co_u32_e32 v24, vcc, v33, v24
	v_addc_co_u32_e32 v25, vcc, v34, v25, vcc
	global_store_dwordx2 v[24:25], v[14:15], off
	v_mov_b32_e32 v24, v32
	v_mad_u64_u32 v[24:25], s[0:1], s3, v35, v[24:25]
	v_lshlrev_b64 v[14:15], 3, v[29:30]
	v_add_f32_e32 v12, v125, v12
	v_add_co_u32_e32 v14, vcc, v33, v14
	v_addc_co_u32_e32 v15, vcc, v34, v15, vcc
	v_mov_b32_e32 v32, v24
	v_add_u32_e32 v24, 0x12c, v28
	global_store_dwordx2 v[14:15], v[12:13], off
	v_mad_u64_u32 v[14:15], s[0:1], s2, v24, 0
	v_lshlrev_b64 v[12:13], 3, v[31:32]
	v_fmac_f32_e32 v73, 0xbf788fa5, v72
	v_mad_u64_u32 v[24:25], s[0:1], s3, v24, v[15:16]
	v_add_u32_e32 v25, 0x190, v28
	v_mad_u64_u32 v[29:30], s[0:1], s2, v25, 0
	v_add_co_u32_e32 v12, vcc, v33, v12
	v_addc_co_u32_e32 v13, vcc, v34, v13, vcc
	global_store_dwordx2 v[12:13], v[10:11], off
	v_mov_b32_e32 v12, v30
	v_mov_b32_e32 v15, v24
	v_mad_u64_u32 v[12:13], s[0:1], s3, v25, v[12:13]
	v_lshlrev_b64 v[10:11], 3, v[14:15]
	v_add_u32_e32 v14, 0x258, v28
	v_add_co_u32_e32 v10, vcc, v33, v10
	v_addc_co_u32_e32 v11, vcc, v34, v11, vcc
	v_mov_b32_e32 v30, v12
	v_add_u32_e32 v12, 0x1f4, v28
	global_store_dwordx2 v[10:11], v[8:9], off
	v_mad_u64_u32 v[10:11], s[0:1], s2, v12, 0
	v_lshlrev_b64 v[8:9], 3, v[29:30]
	v_add_f32_e32 v0, v0, v73
	v_mad_u64_u32 v[11:12], s[0:1], s3, v12, v[11:12]
	v_mad_u64_u32 v[12:13], s[0:1], s2, v14, 0
	v_add_co_u32_e32 v8, vcc, v33, v8
	v_addc_co_u32_e32 v9, vcc, v34, v9, vcc
	global_store_dwordx2 v[8:9], v[6:7], off
	v_mov_b32_e32 v8, v13
	v_mad_u64_u32 v[8:9], s[0:1], s3, v14, v[8:9]
	v_lshlrev_b64 v[6:7], 3, v[10:11]
	v_add_u32_e32 v10, 0x320, v28
	v_add_co_u32_e32 v6, vcc, v33, v6
	v_addc_co_u32_e32 v7, vcc, v34, v7, vcc
	v_mov_b32_e32 v13, v8
	v_add_u32_e32 v8, 0x2bc, v28
	global_store_dwordx2 v[6:7], v[4:5], off
	v_mad_u64_u32 v[6:7], s[0:1], s2, v8, 0
	v_lshlrev_b64 v[4:5], 3, v[12:13]
	v_mad_u64_u32 v[7:8], s[0:1], s3, v8, v[7:8]
	v_mad_u64_u32 v[8:9], s[0:1], s2, v10, 0
	v_add_co_u32_e32 v4, vcc, v33, v4
	v_addc_co_u32_e32 v5, vcc, v34, v5, vcc
	global_store_dwordx2 v[4:5], v[2:3], off
	v_mov_b32_e32 v4, v9
	v_mad_u64_u32 v[4:5], s[0:1], s3, v10, v[4:5]
	v_lshlrev_b64 v[2:3], 3, v[6:7]
	v_add_u32_e32 v6, 0x384, v28
	v_mov_b32_e32 v9, v4
	v_mad_u64_u32 v[4:5], s[0:1], s2, v6, 0
	v_add_co_u32_e32 v2, vcc, v33, v2
	v_addc_co_u32_e32 v3, vcc, v34, v3, vcc
	global_store_dwordx2 v[2:3], v[16:17], off
	v_lshlrev_b64 v[2:3], 3, v[8:9]
	v_mad_u64_u32 v[5:6], s[0:1], s3, v6, v[5:6]
	v_add_u32_e32 v8, 0x3e8, v28
	v_mad_u64_u32 v[6:7], s[0:1], s2, v8, 0
	v_add_co_u32_e32 v2, vcc, v33, v2
	v_addc_co_u32_e32 v3, vcc, v34, v3, vcc
	global_store_dwordx2 v[2:3], v[18:19], off
	v_lshlrev_b64 v[2:3], 3, v[4:5]
	v_mov_b32_e32 v4, v7
	v_mad_u64_u32 v[4:5], s[0:1], s3, v8, v[4:5]
	v_add_co_u32_e32 v2, vcc, v33, v2
	v_addc_co_u32_e32 v3, vcc, v34, v3, vcc
	v_mov_b32_e32 v7, v4
	global_store_dwordx2 v[2:3], v[20:21], off
	v_lshlrev_b64 v[2:3], 3, v[6:7]
	v_add_u32_e32 v6, 0x44c, v28
	v_mad_u64_u32 v[4:5], s[0:1], s2, v6, 0
	v_add_u32_e32 v8, 0x4b0, v28
	v_add_co_u32_e32 v2, vcc, v33, v2
	v_mad_u64_u32 v[5:6], s[0:1], s3, v6, v[5:6]
	v_mad_u64_u32 v[6:7], s[0:1], s2, v8, 0
	v_addc_co_u32_e32 v3, vcc, v34, v3, vcc
	global_store_dwordx2 v[2:3], v[22:23], off
	v_lshlrev_b64 v[2:3], 3, v[4:5]
	v_mov_b32_e32 v4, v7
	v_mad_u64_u32 v[4:5], s[0:1], s3, v8, v[4:5]
	v_add_co_u32_e32 v2, vcc, v33, v2
	v_addc_co_u32_e32 v3, vcc, v34, v3, vcc
	v_mov_b32_e32 v7, v4
	global_store_dwordx2 v[2:3], v[26:27], off
	v_lshlrev_b64 v[2:3], 3, v[6:7]
	v_add_co_u32_e32 v2, vcc, v33, v2
	v_addc_co_u32_e32 v3, vcc, v34, v3, vcc
	global_store_dwordx2 v[2:3], v[0:1], off
	s_endpgm
	.section	.rodata,"a",@progbits
	.p2align	6, 0x0
	.amdhsa_kernel fft_rtc_fwd_len1300_factors_10_10_13_wgs_130_tpt_130_sp_ip_CI_sbrr_dirReg
		.amdhsa_group_segment_fixed_size 0
		.amdhsa_private_segment_fixed_size 0
		.amdhsa_kernarg_size 88
		.amdhsa_user_sgpr_count 6
		.amdhsa_user_sgpr_private_segment_buffer 1
		.amdhsa_user_sgpr_dispatch_ptr 0
		.amdhsa_user_sgpr_queue_ptr 0
		.amdhsa_user_sgpr_kernarg_segment_ptr 1
		.amdhsa_user_sgpr_dispatch_id 0
		.amdhsa_user_sgpr_flat_scratch_init 0
		.amdhsa_user_sgpr_private_segment_size 0
		.amdhsa_uses_dynamic_stack 0
		.amdhsa_system_sgpr_private_segment_wavefront_offset 0
		.amdhsa_system_sgpr_workgroup_id_x 1
		.amdhsa_system_sgpr_workgroup_id_y 0
		.amdhsa_system_sgpr_workgroup_id_z 0
		.amdhsa_system_sgpr_workgroup_info 0
		.amdhsa_system_vgpr_workitem_id 0
		.amdhsa_next_free_vgpr 126
		.amdhsa_next_free_sgpr 24
		.amdhsa_reserve_vcc 1
		.amdhsa_reserve_flat_scratch 0
		.amdhsa_float_round_mode_32 0
		.amdhsa_float_round_mode_16_64 0
		.amdhsa_float_denorm_mode_32 3
		.amdhsa_float_denorm_mode_16_64 3
		.amdhsa_dx10_clamp 1
		.amdhsa_ieee_mode 1
		.amdhsa_fp16_overflow 0
		.amdhsa_exception_fp_ieee_invalid_op 0
		.amdhsa_exception_fp_denorm_src 0
		.amdhsa_exception_fp_ieee_div_zero 0
		.amdhsa_exception_fp_ieee_overflow 0
		.amdhsa_exception_fp_ieee_underflow 0
		.amdhsa_exception_fp_ieee_inexact 0
		.amdhsa_exception_int_div_zero 0
	.end_amdhsa_kernel
	.text
.Lfunc_end0:
	.size	fft_rtc_fwd_len1300_factors_10_10_13_wgs_130_tpt_130_sp_ip_CI_sbrr_dirReg, .Lfunc_end0-fft_rtc_fwd_len1300_factors_10_10_13_wgs_130_tpt_130_sp_ip_CI_sbrr_dirReg
                                        ; -- End function
	.section	.AMDGPU.csdata,"",@progbits
; Kernel info:
; codeLenInByte = 7988
; NumSgprs: 28
; NumVgprs: 126
; ScratchSize: 0
; MemoryBound: 0
; FloatMode: 240
; IeeeMode: 1
; LDSByteSize: 0 bytes/workgroup (compile time only)
; SGPRBlocks: 3
; VGPRBlocks: 31
; NumSGPRsForWavesPerEU: 28
; NumVGPRsForWavesPerEU: 126
; Occupancy: 2
; WaveLimiterHint : 1
; COMPUTE_PGM_RSRC2:SCRATCH_EN: 0
; COMPUTE_PGM_RSRC2:USER_SGPR: 6
; COMPUTE_PGM_RSRC2:TRAP_HANDLER: 0
; COMPUTE_PGM_RSRC2:TGID_X_EN: 1
; COMPUTE_PGM_RSRC2:TGID_Y_EN: 0
; COMPUTE_PGM_RSRC2:TGID_Z_EN: 0
; COMPUTE_PGM_RSRC2:TIDIG_COMP_CNT: 0
	.type	__hip_cuid_f8a740cc034d2b7,@object ; @__hip_cuid_f8a740cc034d2b7
	.section	.bss,"aw",@nobits
	.globl	__hip_cuid_f8a740cc034d2b7
__hip_cuid_f8a740cc034d2b7:
	.byte	0                               ; 0x0
	.size	__hip_cuid_f8a740cc034d2b7, 1

	.ident	"AMD clang version 19.0.0git (https://github.com/RadeonOpenCompute/llvm-project roc-6.4.0 25133 c7fe45cf4b819c5991fe208aaa96edf142730f1d)"
	.section	".note.GNU-stack","",@progbits
	.addrsig
	.addrsig_sym __hip_cuid_f8a740cc034d2b7
	.amdgpu_metadata
---
amdhsa.kernels:
  - .args:
      - .actual_access:  read_only
        .address_space:  global
        .offset:         0
        .size:           8
        .value_kind:     global_buffer
      - .offset:         8
        .size:           8
        .value_kind:     by_value
      - .actual_access:  read_only
        .address_space:  global
        .offset:         16
        .size:           8
        .value_kind:     global_buffer
      - .actual_access:  read_only
        .address_space:  global
        .offset:         24
        .size:           8
        .value_kind:     global_buffer
      - .offset:         32
        .size:           8
        .value_kind:     by_value
      - .actual_access:  read_only
        .address_space:  global
        .offset:         40
        .size:           8
        .value_kind:     global_buffer
      - .actual_access:  read_only
        .address_space:  global
        .offset:         48
        .size:           8
        .value_kind:     global_buffer
      - .offset:         56
        .size:           4
        .value_kind:     by_value
      - .actual_access:  read_only
        .address_space:  global
        .offset:         64
        .size:           8
        .value_kind:     global_buffer
      - .actual_access:  read_only
        .address_space:  global
        .offset:         72
        .size:           8
        .value_kind:     global_buffer
      - .address_space:  global
        .offset:         80
        .size:           8
        .value_kind:     global_buffer
    .group_segment_fixed_size: 0
    .kernarg_segment_align: 8
    .kernarg_segment_size: 88
    .language:       OpenCL C
    .language_version:
      - 2
      - 0
    .max_flat_workgroup_size: 130
    .name:           fft_rtc_fwd_len1300_factors_10_10_13_wgs_130_tpt_130_sp_ip_CI_sbrr_dirReg
    .private_segment_fixed_size: 0
    .sgpr_count:     28
    .sgpr_spill_count: 0
    .symbol:         fft_rtc_fwd_len1300_factors_10_10_13_wgs_130_tpt_130_sp_ip_CI_sbrr_dirReg.kd
    .uniform_work_group_size: 1
    .uses_dynamic_stack: false
    .vgpr_count:     126
    .vgpr_spill_count: 0
    .wavefront_size: 64
amdhsa.target:   amdgcn-amd-amdhsa--gfx906
amdhsa.version:
  - 1
  - 2
...

	.end_amdgpu_metadata
